;; amdgpu-corpus repo=ROCm/rocFFT kind=compiled arch=gfx1030 opt=O3
	.text
	.amdgcn_target "amdgcn-amd-amdhsa--gfx1030"
	.amdhsa_code_object_version 6
	.protected	fft_rtc_fwd_len1320_factors_11_2_3_5_4_wgs_165_tpt_165_half_op_CI_CI_sbrr_dirReg ; -- Begin function fft_rtc_fwd_len1320_factors_11_2_3_5_4_wgs_165_tpt_165_half_op_CI_CI_sbrr_dirReg
	.globl	fft_rtc_fwd_len1320_factors_11_2_3_5_4_wgs_165_tpt_165_half_op_CI_CI_sbrr_dirReg
	.p2align	8
	.type	fft_rtc_fwd_len1320_factors_11_2_3_5_4_wgs_165_tpt_165_half_op_CI_CI_sbrr_dirReg,@function
fft_rtc_fwd_len1320_factors_11_2_3_5_4_wgs_165_tpt_165_half_op_CI_CI_sbrr_dirReg: ; @fft_rtc_fwd_len1320_factors_11_2_3_5_4_wgs_165_tpt_165_half_op_CI_CI_sbrr_dirReg
; %bb.0:
	s_clause 0x2
	s_load_dwordx4 s[16:19], s[4:5], 0x18
	s_load_dwordx4 s[12:15], s[4:5], 0x0
	;; [unrolled: 1-line block ×3, first 2 shown]
	v_mul_u32_u24_e32 v1, 0x18e, v0
	v_mov_b32_e32 v7, 0
	v_mov_b32_e32 v5, 0
	;; [unrolled: 1-line block ×3, first 2 shown]
	s_waitcnt lgkmcnt(0)
	s_load_dwordx2 s[20:21], s[16:17], 0x0
	s_load_dwordx2 s[2:3], s[18:19], 0x0
	v_cmp_lt_u64_e64 s0, s[14:15], 2
	v_add_nc_u32_sdwa v9, s6, v1 dst_sel:DWORD dst_unused:UNUSED_PAD src0_sel:DWORD src1_sel:WORD_1
	v_mov_b32_e32 v10, v7
	s_and_b32 vcc_lo, exec_lo, s0
	s_cbranch_vccnz .LBB0_8
; %bb.1:
	s_load_dwordx2 s[0:1], s[4:5], 0x10
	v_mov_b32_e32 v5, 0
	v_mov_b32_e32 v6, 0
	s_add_u32 s6, s18, 8
	s_addc_u32 s7, s19, 0
	v_mov_b32_e32 v1, v5
	s_add_u32 s22, s16, 8
	v_mov_b32_e32 v2, v6
	s_addc_u32 s23, s17, 0
	s_mov_b64 s[26:27], 1
	s_waitcnt lgkmcnt(0)
	s_add_u32 s24, s0, 8
	s_addc_u32 s25, s1, 0
.LBB0_2:                                ; =>This Inner Loop Header: Depth=1
	s_load_dwordx2 s[28:29], s[24:25], 0x0
                                        ; implicit-def: $vgpr3_vgpr4
	s_mov_b32 s0, exec_lo
	s_waitcnt lgkmcnt(0)
	v_or_b32_e32 v8, s29, v10
	v_cmpx_ne_u64_e32 0, v[7:8]
	s_xor_b32 s1, exec_lo, s0
	s_cbranch_execz .LBB0_4
; %bb.3:                                ;   in Loop: Header=BB0_2 Depth=1
	v_cvt_f32_u32_e32 v3, s28
	v_cvt_f32_u32_e32 v4, s29
	s_sub_u32 s0, 0, s28
	s_subb_u32 s30, 0, s29
	v_fmac_f32_e32 v3, 0x4f800000, v4
	v_rcp_f32_e32 v3, v3
	v_mul_f32_e32 v3, 0x5f7ffffc, v3
	v_mul_f32_e32 v4, 0x2f800000, v3
	v_trunc_f32_e32 v4, v4
	v_fmac_f32_e32 v3, 0xcf800000, v4
	v_cvt_u32_f32_e32 v4, v4
	v_cvt_u32_f32_e32 v3, v3
	v_mul_lo_u32 v8, s0, v4
	v_mul_hi_u32 v11, s0, v3
	v_mul_lo_u32 v12, s30, v3
	v_add_nc_u32_e32 v8, v11, v8
	v_mul_lo_u32 v11, s0, v3
	v_add_nc_u32_e32 v8, v8, v12
	v_mul_hi_u32 v12, v3, v11
	v_mul_lo_u32 v13, v3, v8
	v_mul_hi_u32 v14, v3, v8
	v_mul_hi_u32 v15, v4, v11
	v_mul_lo_u32 v11, v4, v11
	v_mul_hi_u32 v16, v4, v8
	v_mul_lo_u32 v8, v4, v8
	v_add_co_u32 v12, vcc_lo, v12, v13
	v_add_co_ci_u32_e32 v13, vcc_lo, 0, v14, vcc_lo
	v_add_co_u32 v11, vcc_lo, v12, v11
	v_add_co_ci_u32_e32 v11, vcc_lo, v13, v15, vcc_lo
	v_add_co_ci_u32_e32 v12, vcc_lo, 0, v16, vcc_lo
	v_add_co_u32 v8, vcc_lo, v11, v8
	v_add_co_ci_u32_e32 v11, vcc_lo, 0, v12, vcc_lo
	v_add_co_u32 v3, vcc_lo, v3, v8
	v_add_co_ci_u32_e32 v4, vcc_lo, v4, v11, vcc_lo
	v_mul_hi_u32 v8, s0, v3
	v_mul_lo_u32 v12, s30, v3
	v_mul_lo_u32 v11, s0, v4
	v_add_nc_u32_e32 v8, v8, v11
	v_mul_lo_u32 v11, s0, v3
	v_add_nc_u32_e32 v8, v8, v12
	v_mul_hi_u32 v12, v3, v11
	v_mul_lo_u32 v13, v3, v8
	v_mul_hi_u32 v14, v3, v8
	v_mul_hi_u32 v15, v4, v11
	v_mul_lo_u32 v11, v4, v11
	v_mul_hi_u32 v16, v4, v8
	v_mul_lo_u32 v8, v4, v8
	v_add_co_u32 v12, vcc_lo, v12, v13
	v_add_co_ci_u32_e32 v13, vcc_lo, 0, v14, vcc_lo
	v_add_co_u32 v11, vcc_lo, v12, v11
	v_add_co_ci_u32_e32 v11, vcc_lo, v13, v15, vcc_lo
	v_add_co_ci_u32_e32 v12, vcc_lo, 0, v16, vcc_lo
	v_add_co_u32 v8, vcc_lo, v11, v8
	v_add_co_ci_u32_e32 v11, vcc_lo, 0, v12, vcc_lo
	v_add_co_u32 v8, vcc_lo, v3, v8
	v_add_co_ci_u32_e32 v13, vcc_lo, v4, v11, vcc_lo
	v_mul_hi_u32 v15, v9, v8
	v_mad_u64_u32 v[11:12], null, v10, v8, 0
	v_mad_u64_u32 v[3:4], null, v9, v13, 0
	v_mad_u64_u32 v[13:14], null, v10, v13, 0
	v_add_co_u32 v3, vcc_lo, v15, v3
	v_add_co_ci_u32_e32 v4, vcc_lo, 0, v4, vcc_lo
	v_add_co_u32 v3, vcc_lo, v3, v11
	v_add_co_ci_u32_e32 v3, vcc_lo, v4, v12, vcc_lo
	v_add_co_ci_u32_e32 v4, vcc_lo, 0, v14, vcc_lo
	v_add_co_u32 v8, vcc_lo, v3, v13
	v_add_co_ci_u32_e32 v11, vcc_lo, 0, v4, vcc_lo
	v_mul_lo_u32 v12, s29, v8
	v_mad_u64_u32 v[3:4], null, s28, v8, 0
	v_mul_lo_u32 v13, s28, v11
	v_sub_co_u32 v3, vcc_lo, v9, v3
	v_add3_u32 v4, v4, v13, v12
	v_sub_nc_u32_e32 v12, v10, v4
	v_subrev_co_ci_u32_e64 v12, s0, s29, v12, vcc_lo
	v_add_co_u32 v13, s0, v8, 2
	v_add_co_ci_u32_e64 v14, s0, 0, v11, s0
	v_sub_co_u32 v15, s0, v3, s28
	v_sub_co_ci_u32_e32 v4, vcc_lo, v10, v4, vcc_lo
	v_subrev_co_ci_u32_e64 v12, s0, 0, v12, s0
	v_cmp_le_u32_e32 vcc_lo, s28, v15
	v_cmp_eq_u32_e64 s0, s29, v4
	v_cndmask_b32_e64 v15, 0, -1, vcc_lo
	v_cmp_le_u32_e32 vcc_lo, s29, v12
	v_cndmask_b32_e64 v16, 0, -1, vcc_lo
	v_cmp_le_u32_e32 vcc_lo, s28, v3
	;; [unrolled: 2-line block ×3, first 2 shown]
	v_cndmask_b32_e64 v17, 0, -1, vcc_lo
	v_cmp_eq_u32_e32 vcc_lo, s29, v12
	v_cndmask_b32_e64 v3, v17, v3, s0
	v_cndmask_b32_e32 v12, v16, v15, vcc_lo
	v_add_co_u32 v15, vcc_lo, v8, 1
	v_add_co_ci_u32_e32 v16, vcc_lo, 0, v11, vcc_lo
	v_cmp_ne_u32_e32 vcc_lo, 0, v12
	v_cndmask_b32_e32 v4, v16, v14, vcc_lo
	v_cndmask_b32_e32 v12, v15, v13, vcc_lo
	v_cmp_ne_u32_e32 vcc_lo, 0, v3
	v_cndmask_b32_e32 v4, v11, v4, vcc_lo
	v_cndmask_b32_e32 v3, v8, v12, vcc_lo
.LBB0_4:                                ;   in Loop: Header=BB0_2 Depth=1
	s_andn2_saveexec_b32 s0, s1
	s_cbranch_execz .LBB0_6
; %bb.5:                                ;   in Loop: Header=BB0_2 Depth=1
	v_cvt_f32_u32_e32 v3, s28
	s_sub_i32 s1, 0, s28
	v_rcp_iflag_f32_e32 v3, v3
	v_mul_f32_e32 v3, 0x4f7ffffe, v3
	v_cvt_u32_f32_e32 v3, v3
	v_mul_lo_u32 v4, s1, v3
	v_mul_hi_u32 v4, v3, v4
	v_add_nc_u32_e32 v3, v3, v4
	v_mul_hi_u32 v3, v9, v3
	v_mul_lo_u32 v4, v3, s28
	v_add_nc_u32_e32 v8, 1, v3
	v_sub_nc_u32_e32 v4, v9, v4
	v_subrev_nc_u32_e32 v11, s28, v4
	v_cmp_le_u32_e32 vcc_lo, s28, v4
	v_cndmask_b32_e32 v4, v4, v11, vcc_lo
	v_cndmask_b32_e32 v3, v3, v8, vcc_lo
	v_cmp_le_u32_e32 vcc_lo, s28, v4
	v_add_nc_u32_e32 v8, 1, v3
	v_mov_b32_e32 v4, v7
	v_cndmask_b32_e32 v3, v3, v8, vcc_lo
.LBB0_6:                                ;   in Loop: Header=BB0_2 Depth=1
	s_or_b32 exec_lo, exec_lo, s0
	v_mul_lo_u32 v8, v4, s28
	v_mul_lo_u32 v13, v3, s29
	s_load_dwordx2 s[0:1], s[22:23], 0x0
	v_mad_u64_u32 v[11:12], null, v3, s28, 0
	s_load_dwordx2 s[28:29], s[6:7], 0x0
	s_add_u32 s26, s26, 1
	s_addc_u32 s27, s27, 0
	s_add_u32 s6, s6, 8
	s_addc_u32 s7, s7, 0
	s_add_u32 s22, s22, 8
	v_add3_u32 v8, v12, v13, v8
	v_sub_co_u32 v9, vcc_lo, v9, v11
	s_addc_u32 s23, s23, 0
	s_add_u32 s24, s24, 8
	v_sub_co_ci_u32_e32 v8, vcc_lo, v10, v8, vcc_lo
	s_addc_u32 s25, s25, 0
	s_waitcnt lgkmcnt(0)
	v_mul_lo_u32 v10, s0, v8
	v_mul_lo_u32 v11, s1, v9
	v_mad_u64_u32 v[5:6], null, s0, v9, v[5:6]
	v_mul_lo_u32 v8, s28, v8
	v_mul_lo_u32 v12, s29, v9
	v_mad_u64_u32 v[1:2], null, s28, v9, v[1:2]
	v_cmp_ge_u64_e64 s0, s[26:27], s[14:15]
	v_add3_u32 v6, v11, v6, v10
	v_add3_u32 v2, v12, v2, v8
	s_and_b32 vcc_lo, exec_lo, s0
	s_cbranch_vccnz .LBB0_9
; %bb.7:                                ;   in Loop: Header=BB0_2 Depth=1
	v_mov_b32_e32 v10, v4
	v_mov_b32_e32 v9, v3
	s_branch .LBB0_2
.LBB0_8:
	v_mov_b32_e32 v1, v5
	v_mov_b32_e32 v3, v9
	;; [unrolled: 1-line block ×4, first 2 shown]
.LBB0_9:
	s_load_dwordx2 s[0:1], s[4:5], 0x28
	v_mul_hi_u32 v7, 0x18d3019, v0
	s_lshl_b64 s[6:7], s[14:15], 3
	v_mov_b32_e32 v8, 0
	s_add_u32 s4, s18, s6
	s_addc_u32 s5, s19, s7
                                        ; implicit-def: $vgpr32
                                        ; implicit-def: $vgpr24
                                        ; implicit-def: $vgpr31
                                        ; implicit-def: $vgpr23
                                        ; implicit-def: $vgpr30
                                        ; implicit-def: $vgpr21
                                        ; implicit-def: $vgpr29
                                        ; implicit-def: $vgpr20
                                        ; implicit-def: $vgpr28
                                        ; implicit-def: $vgpr18
                                        ; implicit-def: $vgpr26
                                        ; implicit-def: $vgpr14
                                        ; implicit-def: $vgpr25
                                        ; implicit-def: $vgpr13
                                        ; implicit-def: $vgpr19
                                        ; implicit-def: $vgpr9
                                        ; implicit-def: $vgpr22
                                        ; implicit-def: $vgpr10
                                        ; implicit-def: $vgpr27
                                        ; implicit-def: $vgpr15
	v_mul_u32_u24_e32 v7, 0xa5, v7
	v_sub_nc_u32_e32 v0, v0, v7
	v_mov_b32_e32 v7, 0
	s_waitcnt lgkmcnt(0)
	v_cmp_gt_u64_e32 vcc_lo, s[0:1], v[3:4]
	v_cmp_gt_u32_e64 s0, 0x78, v0
	s_and_b32 s1, vcc_lo, s0
	s_and_saveexec_b32 s14, s1
	s_cbranch_execz .LBB0_11
; %bb.10:
	s_add_u32 s6, s16, s6
	s_addc_u32 s7, s17, s7
	v_add_nc_u32_e32 v20, 0x78, v0
	s_load_dwordx2 s[6:7], s[6:7], 0x0
	v_add_nc_u32_e32 v22, 0xf0, v0
	v_add_nc_u32_e32 v23, 0x168, v0
	v_mad_u64_u32 v[7:8], null, s20, v0, 0
	v_mad_u64_u32 v[9:10], null, s20, v20, 0
	;; [unrolled: 1-line block ×4, first 2 shown]
	v_lshlrev_b64 v[5:6], 2, v[5:6]
	v_add_nc_u32_e32 v24, 0x1e0, v0
	v_mad_u64_u32 v[17:18], null, s21, v0, v[8:9]
	v_mov_b32_e32 v8, v10
	v_mov_b32_e32 v10, v12
	;; [unrolled: 1-line block ×3, first 2 shown]
	v_mad_u64_u32 v[18:19], null, s20, v24, 0
	s_waitcnt lgkmcnt(0)
	v_mul_lo_u32 v21, s7, v3
	v_mul_lo_u32 v25, s6, v4
	v_mad_u64_u32 v[15:16], null, s6, v3, 0
	v_add_nc_u32_e32 v29, 0x3c0, v0
	v_add3_u32 v16, v16, v25, v21
	v_mad_u64_u32 v[20:21], null, s21, v20, v[8:9]
	v_mad_u64_u32 v[21:22], null, s21, v22, v[10:11]
	v_lshlrev_b64 v[14:15], 2, v[15:16]
	v_mov_b32_e32 v8, v17
	v_mad_u64_u32 v[16:17], null, s21, v23, v[12:13]
	v_mov_b32_e32 v10, v20
	v_add_co_u32 v14, s1, s8, v14
	v_add_co_ci_u32_e64 v15, s1, s9, v15, s1
	v_mov_b32_e32 v12, v21
	v_add_co_u32 v34, s1, v14, v5
	v_add_co_ci_u32_e64 v35, s1, v15, v6, s1
	v_add_nc_u32_e32 v15, 0x258, v0
	v_lshlrev_b64 v[7:8], 2, v[7:8]
	v_lshlrev_b64 v[5:6], 2, v[9:10]
	;; [unrolled: 1-line block ×3, first 2 shown]
	v_mov_b32_e32 v11, v19
	v_mad_u64_u32 v[20:21], null, s20, v15, 0
	v_mov_b32_e32 v14, v16
	v_add_co_u32 v7, s1, v34, v7
	v_mad_u64_u32 v[11:12], null, s21, v24, v[11:12]
	v_lshlrev_b64 v[13:14], 2, v[13:14]
	v_add_co_ci_u32_e64 v8, s1, v35, v8, s1
	v_mov_b32_e32 v12, v21
	v_add_nc_u32_e32 v24, 0x2d0, v0
	v_add_co_u32 v5, s1, v34, v5
	v_add_co_ci_u32_e64 v6, s1, v35, v6, s1
	v_add_co_u32 v9, s1, v34, v9
	v_mov_b32_e32 v19, v11
	v_mad_u64_u32 v[11:12], null, s21, v15, v[12:13]
	v_mad_u64_u32 v[15:16], null, s20, v24, 0
	v_add_co_ci_u32_e64 v10, s1, v35, v10, s1
	v_add_co_u32 v12, s1, v34, v13
	v_add_co_ci_u32_e64 v13, s1, v35, v14, s1
	v_add_nc_u32_e32 v14, 0x348, v0
	v_mov_b32_e32 v21, v11
	v_mov_b32_e32 v11, v16
	v_lshlrev_b64 v[17:18], 2, v[18:19]
	v_mad_u64_u32 v[22:23], null, s20, v14, 0
	v_mad_u64_u32 v[24:25], null, s21, v24, v[11:12]
	;; [unrolled: 1-line block ×3, first 2 shown]
	v_lshlrev_b64 v[19:20], 2, v[20:21]
	v_add_nc_u32_e32 v21, 0x438, v0
	v_mov_b32_e32 v11, v23
	v_add_co_u32 v17, s1, v34, v17
	v_mov_b32_e32 v16, v24
	v_mad_u64_u32 v[27:28], null, s20, v21, 0
	v_mad_u64_u32 v[23:24], null, s21, v14, v[11:12]
	v_mov_b32_e32 v11, v26
	v_add_nc_u32_e32 v24, 0x4b0, v0
	v_add_co_ci_u32_e64 v18, s1, v35, v18, s1
	v_add_co_u32 v32, s1, v34, v19
	v_mad_u64_u32 v[29:30], null, s21, v29, v[11:12]
	v_mad_u64_u32 v[30:31], null, s20, v24, 0
	v_mov_b32_e32 v11, v28
	v_add_co_ci_u32_e64 v33, s1, v35, v20, s1
	v_lshlrev_b64 v[14:15], 2, v[15:16]
	v_mov_b32_e32 v26, v29
	v_mad_u64_u32 v[19:20], null, s21, v21, v[11:12]
	v_mov_b32_e32 v11, v31
	v_lshlrev_b64 v[20:21], 2, v[22:23]
	v_add_co_u32 v14, s1, v34, v14
	v_add_co_ci_u32_e64 v15, s1, v35, v15, s1
	v_mad_u64_u32 v[22:23], null, s21, v24, v[11:12]
	v_mov_b32_e32 v28, v19
	v_lshlrev_b64 v[23:24], 2, v[25:26]
	v_add_co_u32 v25, s1, v34, v20
	v_add_co_ci_u32_e64 v26, s1, v35, v21, s1
	v_mov_b32_e32 v31, v22
	v_lshlrev_b64 v[19:20], 2, v[27:28]
	v_add_co_u32 v27, s1, v34, v23
	v_add_co_ci_u32_e64 v28, s1, v35, v24, s1
	v_lshlrev_b64 v[21:22], 2, v[30:31]
	v_add_co_u32 v29, s1, v34, v19
	v_add_co_ci_u32_e64 v30, s1, v35, v20, s1
	v_add_co_u32 v34, s1, v34, v21
	v_add_co_ci_u32_e64 v35, s1, v35, v22, s1
	s_clause 0xa
	global_load_dword v7, v[7:8], off
	global_load_dword v24, v[5:6], off
	;; [unrolled: 1-line block ×11, first 2 shown]
	s_waitcnt vmcnt(10)
	v_lshrrev_b32_e32 v8, 16, v7
	s_waitcnt vmcnt(9)
	v_lshrrev_b32_e32 v32, 16, v24
	;; [unrolled: 2-line block ×11, first 2 shown]
.LBB0_11:
	s_or_b32 exec_lo, exec_lo, s14
	v_add_f16_e32 v40, v24, v9
	v_sub_f16_e32 v45, v24, v9
	v_add_f16_e32 v5, v32, v19
	v_sub_f16_e32 v6, v32, v19
	v_add_f16_e32 v42, v23, v10
	v_mul_f16_e32 v49, 0x36a6, v40
	v_sub_f16_e32 v47, v23, v10
	v_mul_f16_e32 v54, 0xbb47, v45
	v_mul_f16_e32 v62, 0xbbeb, v45
	v_sub_f16_e32 v33, v31, v22
	v_fmamk_f16 v11, v6, 0xbb47, v49
	v_mul_f16_e32 v51, 0xb93d, v42
	v_fma_f16 v12, v5, 0x36a6, -v54
	v_fma_f16 v17, v5, 0xb08e, -v62
	v_add_f16_e32 v34, v31, v22
	v_mul_f16_e32 v55, 0xba0c, v47
	v_sub_f16_e32 v50, v21, v15
	v_mul_f16_e32 v66, 0x3482, v47
	v_mul_f16_e32 v58, 0xb08e, v40
	v_add_f16_e32 v11, v7, v11
	v_fmamk_f16 v35, v33, 0xba0c, v51
	v_add_f16_e32 v12, v8, v12
	v_add_f16_e32 v17, v8, v17
	v_fma_f16 v37, v34, 0xb93d, -v55
	v_add_f16_e32 v39, v21, v15
	v_add_f16_e32 v36, v30, v27
	v_mul_f16_e32 v56, 0x3482, v50
	v_fma_f16 v41, v34, 0xbbad, -v66
	v_fmamk_f16 v16, v6, 0xbbeb, v58
	v_add_f16_e32 v11, v11, v35
	v_mul_f16_e32 v60, 0xbbad, v42
	v_sub_f16_e32 v35, v30, v27
	v_mul_f16_e32 v52, 0xbbad, v39
	v_add_f16_e32 v12, v12, v37
	v_fma_f16 v37, v36, 0xbbad, -v56
	v_add_f16_e32 v17, v17, v41
	v_add_f16_e32 v41, v20, v13
	;; [unrolled: 1-line block ×3, first 2 shown]
	v_fmamk_f16 v38, v33, 0x3482, v60
	v_fmamk_f16 v43, v35, 0x3482, v52
	v_add_f16_e32 v12, v12, v37
	v_mul_f16_e32 v64, 0x36a6, v39
	v_mul_f16_e32 v68, 0x3b47, v50
	v_sub_f16_e32 v53, v20, v13
	v_sub_f16_e32 v37, v29, v25
	v_mul_f16_e32 v57, 0xb08e, v41
	v_add_f16_e32 v16, v16, v38
	v_add_f16_e32 v11, v11, v43
	v_fmamk_f16 v43, v35, 0x3b47, v64
	v_add_f16_e32 v38, v29, v25
	v_mul_f16_e32 v59, 0x3beb, v53
	v_fma_f16 v44, v36, 0x36a6, -v68
	v_fmamk_f16 v46, v37, 0x3beb, v57
	v_mul_f16_e32 v65, 0x3abb, v41
	v_add_f16_e32 v16, v16, v43
	v_fma_f16 v43, v38, 0xb08e, -v59
	v_add_f16_e32 v17, v17, v44
	v_mul_f16_e32 v69, 0xb853, v53
	v_add_f16_e32 v11, v46, v11
	v_fmamk_f16 v44, v37, 0xb853, v65
	v_add_f16_e32 v46, v18, v14
	v_sub_f16_e32 v48, v18, v14
	v_add_f16_e32 v12, v43, v12
	v_fma_f16 v71, v38, 0x3abb, -v69
	v_add_f16_e32 v16, v44, v16
	v_sub_f16_e32 v43, v28, v26
	v_mul_f16_e32 v61, 0x3abb, v46
	v_add_f16_e32 v44, v28, v26
	v_mul_f16_e32 v63, 0x3853, v48
	v_mul_f16_e32 v67, 0xb93d, v46
	;; [unrolled: 1-line block ×3, first 2 shown]
	v_add_f16_e32 v17, v71, v17
	v_fmamk_f16 v71, v43, 0x3853, v61
	v_fma_f16 v72, v44, 0x3abb, -v63
	v_fmamk_f16 v73, v43, 0xba0c, v67
	v_fma_f16 v74, v44, 0xb93d, -v70
	v_add_f16_e32 v11, v71, v11
	v_add_f16_e32 v12, v72, v12
	;; [unrolled: 1-line block ×4, first 2 shown]
	s_and_saveexec_b32 s1, s0
	s_cbranch_execz .LBB0_13
; %bb.12:
	v_mul_f16_e32 v71, 0xba0c, v45
	v_mul_f16_e32 v73, 0x3beb, v47
	;; [unrolled: 1-line block ×5, first 2 shown]
	v_fma_f16 v76, v5, 0xb93d, -v71
	v_fmac_f16_e32 v71, 0xb93d, v5
	v_fma_f16 v80, v34, 0xb08e, -v73
	v_fmac_f16_e32 v73, 0xb08e, v34
	v_fmamk_f16 v79, v40, 0xb93d, v72
	v_add_f16_e32 v76, v8, v76
	v_add_f16_e32 v71, v8, v71
	v_fma_f16 v83, v36, 0x3abb, -v75
	v_fma_f16 v72, v40, 0xb93d, -v72
	v_fmac_f16_e32 v75, 0x3abb, v36
	v_mul_f16_e32 v77, 0xb853, v35
	v_add_f16_e32 v71, v71, v73
	v_mul_f16_e32 v78, 0xb482, v53
	v_fmamk_f16 v82, v42, 0xb08e, v74
	v_add_f16_e32 v76, v76, v80
	v_add_f16_e32 v72, v7, v72
	v_fma_f16 v74, v42, 0xb08e, -v74
	v_add_f16_e32 v71, v71, v75
	v_mul_f16_e32 v75, 0xb08e, v5
	v_mul_f16_e32 v81, 0xb482, v37
	;; [unrolled: 1-line block ×3, first 2 shown]
	v_fmamk_f16 v84, v39, 0x3abb, v77
	v_fma_f16 v85, v38, 0xbbad, -v78
	v_add_f16_e32 v76, v76, v83
	v_fmac_f16_e32 v78, 0xbbad, v38
	v_add_f16_e32 v72, v72, v74
	v_fma_f16 v74, v39, 0x3abb, -v77
	v_mul_f16_e32 v77, 0xbbad, v34
	v_add_f16_e32 v62, v75, v62
	v_fma_f16 v86, v44, 0x36a6, -v80
	v_add_f16_e32 v76, v85, v76
	v_mul_f16_e32 v85, 0x3b47, v43
	v_add_f16_e32 v71, v78, v71
	v_add_f16_e32 v72, v72, v74
	v_fma_f16 v74, v41, 0xbbad, -v81
	v_add_f16_e32 v66, v77, v66
	v_add_f16_e32 v62, v8, v62
	v_mul_f16_e32 v75, 0x36a6, v36
	v_fmac_f16_e32 v80, 0x36a6, v44
	v_add_f16_e32 v72, v74, v72
	v_fma_f16 v74, v46, 0x36a6, -v85
	v_add_f16_e32 v62, v62, v66
	v_add_f16_e32 v66, v75, v68
	;; [unrolled: 1-line block ×3, first 2 shown]
	v_mul_f16_e32 v71, 0xbbeb, v6
	v_add_f16_e32 v79, v7, v79
	v_add_f16_e32 v72, v74, v72
	v_mul_f16_e32 v74, 0x3abb, v38
	v_add_f16_e32 v62, v62, v66
	v_mul_f16_e32 v66, 0x3482, v33
	v_sub_f16_e32 v58, v58, v71
	v_add_f16_e32 v79, v79, v82
	v_mul_f16_e32 v82, 0xb482, v45
	v_add_f16_e32 v69, v74, v69
	v_sub_f16_e32 v60, v60, v66
	v_mul_f16_e32 v66, 0x36a6, v5
	v_add_f16_e32 v58, v7, v58
	v_fmamk_f16 v83, v41, 0xbbad, v81
	v_add_f16_e32 v79, v79, v84
	v_fma_f16 v84, v5, 0xbbad, -v82
	v_mul_f16_e32 v87, 0x3853, v47
	v_mul_f16_e32 v74, 0xb93d, v44
	v_add_f16_e32 v62, v69, v62
	v_mul_f16_e32 v69, 0x3b47, v35
	v_add_f16_e32 v58, v58, v60
	;; [unrolled: 2-line block ×3, first 2 shown]
	v_add_f16_e32 v79, v83, v79
	v_add_f16_e32 v83, v8, v84
	v_fma_f16 v84, v34, 0x3abb, -v87
	v_mul_f16_e32 v88, 0xba0c, v50
	v_add_f16_e32 v76, v86, v76
	v_fmamk_f16 v86, v46, 0x36a6, v85
	v_mul_f16_e32 v89, 0xb482, v6
	v_mul_f16_e32 v71, 0xbb47, v6
	v_add_f16_e32 v70, v74, v70
	v_sub_f16_e32 v64, v64, v69
	v_mul_f16_e32 v66, 0xb853, v37
	v_add_f16_e32 v55, v60, v55
	v_add_f16_e32 v54, v8, v54
	;; [unrolled: 1-line block ×5, first 2 shown]
	v_fma_f16 v84, v36, 0xb93d, -v88
	v_mul_f16_e32 v90, 0x3b47, v53
	v_add_f16_e32 v79, v86, v79
	v_fmamk_f16 v86, v40, 0xbbad, v89
	v_mul_f16_e32 v91, 0x3853, v33
	v_mul_f16_e32 v74, 0xba0c, v33
	v_add_f16_e32 v62, v70, v62
	v_mul_f16_e32 v70, 0xbbad, v36
	v_add_f16_e32 v58, v58, v64
	v_sub_f16_e32 v65, v65, v66
	v_sub_f16_e32 v49, v49, v71
	v_add_f16_e32 v54, v54, v55
	v_mul_f16_e32 v55, 0xba0c, v43
	v_add_f16_e32 v31, v32, v31
	v_add_f16_e32 v23, v24, v23
	;; [unrolled: 1-line block ×3, first 2 shown]
	v_fma_f16 v84, v38, 0x36a6, -v90
	v_mul_f16_e32 v92, 0xbbeb, v48
	v_add_f16_e32 v86, v7, v86
	v_fmamk_f16 v93, v42, 0x3abb, v91
	v_mul_f16_e32 v94, 0xba0c, v35
	v_mul_f16_e32 v69, 0x3482, v35
	;; [unrolled: 1-line block ×3, first 2 shown]
	v_add_f16_e32 v56, v70, v56
	v_add_f16_e32 v58, v65, v58
	;; [unrolled: 1-line block ×3, first 2 shown]
	v_sub_f16_e32 v51, v51, v74
	v_sub_f16_e32 v55, v67, v55
	v_mul_f16_e32 v45, 0xb853, v45
	v_add_f16_e32 v30, v31, v30
	v_add_f16_e32 v21, v23, v21
	;; [unrolled: 1-line block ×3, first 2 shown]
	v_fma_f16 v84, v44, 0xb08e, -v92
	v_fmac_f16_e32 v82, 0xbbad, v5
	v_add_f16_e32 v86, v86, v93
	v_fmamk_f16 v93, v39, 0xb93d, v94
	v_mul_f16_e32 v95, 0x3b47, v37
	v_mul_f16_e32 v64, 0x3beb, v37
	;; [unrolled: 1-line block ×3, first 2 shown]
	v_add_f16_e32 v54, v54, v56
	v_add_f16_e32 v56, v60, v59
	;; [unrolled: 1-line block ×3, first 2 shown]
	v_sub_f16_e32 v51, v52, v69
	v_add_f16_e32 v52, v55, v58
	v_fmamk_f16 v55, v5, 0x3abb, v45
	v_mul_f16_e32 v47, 0xbb47, v47
	v_add_f16_e32 v29, v30, v29
	v_add_f16_e32 v20, v21, v20
	v_add_f16_e32 v83, v84, v83
	v_add_f16_e32 v82, v8, v82
	v_fmac_f16_e32 v87, 0x3abb, v34
	v_add_f16_e32 v84, v86, v93
	v_fmamk_f16 v86, v41, 0x36a6, v95
	v_mul_f16_e32 v93, 0xbbeb, v43
	v_fma_f16 v89, v40, 0xbbad, -v89
	v_mul_f16_e32 v66, 0x3853, v43
	v_add_f16_e32 v54, v56, v54
	v_add_f16_e32 v49, v49, v51
	v_sub_f16_e32 v51, v57, v64
	v_add_f16_e32 v56, v71, v63
	v_add_f16_e32 v55, v8, v55
	v_fmamk_f16 v57, v34, 0x36a6, v47
	v_mul_f16_e32 v50, 0xbbeb, v50
	v_mul_f16_e32 v40, 0x3abb, v40
	v_add_f16_e32 v28, v29, v28
	v_add_f16_e32 v18, v20, v18
	v_add_f16_e32 v82, v82, v87
	v_add_f16_e32 v84, v86, v84
	v_fmamk_f16 v86, v46, 0xb08e, v93
	v_add_f16_e32 v87, v7, v89
	v_fma_f16 v89, v42, 0x3abb, -v91
	v_add_f16_e32 v49, v51, v49
	v_sub_f16_e32 v51, v61, v66
	v_add_f16_e32 v55, v55, v57
	v_fmamk_f16 v57, v36, 0xb08e, v50
	v_add_f16_e32 v54, v56, v54
	v_fmamk_f16 v56, v6, 0x3853, v40
	v_mul_f16_e32 v42, 0x36a6, v42
	v_fma_f16 v5, v5, 0x3abb, -v45
	v_fmac_f16_e32 v40, 0xb853, v6
	v_add_f16_e32 v6, v28, v26
	v_add_f16_e32 v14, v18, v14
	;; [unrolled: 1-line block ×4, first 2 shown]
	v_fma_f16 v87, v39, 0xb93d, -v94
	v_add_f16_e32 v49, v51, v49
	v_add_f16_e32 v51, v55, v57
	;; [unrolled: 1-line block ×3, first 2 shown]
	v_fmamk_f16 v57, v33, 0x3b47, v42
	v_mul_f16_e32 v39, 0xb08e, v39
	v_add_f16_e32 v5, v8, v5
	v_fma_f16 v8, v34, 0x36a6, -v47
	v_add_f16_e32 v6, v6, v25
	v_add_f16_e32 v13, v14, v13
	;; [unrolled: 1-line block ×3, first 2 shown]
	v_fmac_f16_e32 v42, 0xbb47, v33
	v_add_f16_e32 v86, v86, v87
	v_fma_f16 v87, v41, 0x36a6, -v95
	v_mul_f16_e32 v53, 0xba0c, v53
	v_add_f16_e32 v24, v56, v57
	v_fmamk_f16 v32, v35, 0x3beb, v39
	v_mul_f16_e32 v41, 0xb93d, v41
	v_add_f16_e32 v5, v5, v8
	v_fma_f16 v8, v36, 0xb08e, -v50
	v_add_f16_e32 v6, v6, v27
	v_add_f16_e32 v13, v13, v15
	v_fmac_f16_e32 v88, 0xb93d, v36
	v_add_f16_e32 v7, v7, v42
	v_fmac_f16_e32 v39, 0xbbeb, v35
	v_fmamk_f16 v55, v38, 0xb93d, v53
	v_mul_f16_e32 v23, 0xb482, v48
	v_add_f16_e32 v24, v24, v32
	v_fmamk_f16 v31, v37, 0x3a0c, v41
	v_mul_f16_e32 v30, 0xbbad, v46
	v_add_f16_e32 v5, v5, v8
	v_add_f16_e32 v6, v22, v6
	;; [unrolled: 1-line block ×4, first 2 shown]
	v_fmac_f16_e32 v90, 0x36a6, v38
	v_fma_f16 v10, v38, 0xb93d, -v53
	v_add_f16_e32 v7, v7, v39
	v_fmac_f16_e32 v41, 0xba0c, v37
	v_add_f16_e32 v51, v55, v51
	v_fmamk_f16 v21, v44, 0xbbad, v23
	v_add_f16_e32 v24, v31, v24
	v_fmamk_f16 v20, v43, 0x3482, v30
	v_add_f16_sdwa v6, v19, v6 dst_sel:WORD_1 dst_unused:UNUSED_PAD src0_sel:DWORD src1_sel:DWORD
	v_add_f16_e32 v8, v9, v8
	v_add_f16_e32 v82, v90, v82
	v_fmac_f16_e32 v92, 0xb08e, v44
	v_add_f16_e32 v73, v87, v86
	v_fma_f16 v86, v46, 0xb08e, -v93
	v_add_f16_e32 v5, v10, v5
	v_fma_f16 v9, v44, 0xbbad, -v23
	v_add_f16_e32 v7, v41, v7
	v_fmac_f16_e32 v30, 0xb482, v43
	v_or_b32_sdwa v6, v6, v8 dst_sel:DWORD dst_unused:UNUSED_PAD src0_sel:DWORD src1_sel:WORD_0
	v_mad_u32_u24 v8, v0, 44, 0
	v_add_f16_e32 v10, v21, v51
	v_add_f16_e32 v13, v20, v24
	;; [unrolled: 1-line block ×6, first 2 shown]
	ds_write_b32 v8, v6
	v_pack_b32_f16 v6, v49, v54
	v_pack_b32_f16 v9, v13, v10
	;; [unrolled: 1-line block ×7, first 2 shown]
	v_perm_b32 v19, v17, v16, 0x5040100
	v_pack_b32_f16 v5, v7, v5
	v_perm_b32 v7, v12, v11, 0x5040100
	ds_write2_b32 v8, v9, v6 offset0:1 offset1:2
	ds_write2_b32 v8, v10, v13 offset0:3 offset1:4
	;; [unrolled: 1-line block ×5, first 2 shown]
.LBB0_13:
	s_or_b32 exec_lo, exec_lo, s1
	v_and_b32_e32 v21, 0xff, v0
	v_add_nc_u32_e32 v7, 0x1ef, v0
	v_mov_b32_e32 v8, 0xba2f
	v_add_nc_u32_e32 v14, 0x14a, v0
	v_add_nc_u32_e32 v13, 0xa5, v0
	v_mul_lo_u16 v5, 0x75, v21
	v_mov_b32_e32 v22, 2
	v_mul_u32_u24_sdwa v9, v7, v8 dst_sel:DWORD dst_unused:UNUSED_PAD src0_sel:WORD_0 src1_sel:DWORD
	v_mul_u32_u24_sdwa v20, v14, v8 dst_sel:DWORD dst_unused:UNUSED_PAD src0_sel:WORD_0 src1_sel:DWORD
	;; [unrolled: 1-line block ×3, first 2 shown]
	v_lshrrev_b16 v5, 8, v5
	s_load_dwordx2 s[4:5], s[4:5], 0x0
	v_lshrrev_b32_e32 v18, 19, v9
	v_lshrrev_b32_e32 v19, 19, v20
	;; [unrolled: 1-line block ×3, first 2 shown]
	v_sub_nc_u16 v6, v0, v5
	s_waitcnt lgkmcnt(0)
	s_barrier
	buffer_gl0_inv
	v_mul_lo_u16 v8, v23, 11
	v_lshrrev_b16 v6, 1, v6
	v_lshl_add_u32 v15, v0, 2, 0
	v_mul_u32_u24_e32 v38, 0x58, v18
	v_mul_u32_u24_e32 v37, 0x58, v19
	;; [unrolled: 1-line block ×3, first 2 shown]
	v_and_b32_e32 v6, 0x7f, v6
	v_add_nc_u32_e32 v35, 0x400, v15
	v_mov_b32_e32 v34, 0x58
	v_add_nc_u32_e32 v36, 0x600, v15
	v_add_nc_u32_e32 v39, 0xd00, v15
	v_add_nc_u16 v5, v6, v5
	v_mul_lo_u16 v6, v19, 11
	v_cmp_gt_u32_e64 s0, 0x6e, v0
	v_lshrrev_b16 v25, 3, v5
	v_mul_lo_u16 v5, v18, 11
	v_sub_nc_u16 v6, v14, v6
	v_mul_lo_u16 v9, v25, 11
	v_sub_nc_u16 v5, v7, v5
	v_sub_nc_u16 v7, v13, v8
	v_lshlrev_b32_sdwa v27, v22, v6 dst_sel:DWORD dst_unused:UNUSED_PAD src0_sel:DWORD src1_sel:WORD_0
	v_mul_u32_u24_sdwa v25, v25, v34 dst_sel:DWORD dst_unused:UNUSED_PAD src0_sel:WORD_0 src1_sel:DWORD
	v_sub_nc_u16 v8, v0, v9
	v_lshlrev_b32_sdwa v26, v22, v5 dst_sel:DWORD dst_unused:UNUSED_PAD src0_sel:DWORD src1_sel:WORD_0
	v_lshlrev_b32_sdwa v28, v22, v7 dst_sel:DWORD dst_unused:UNUSED_PAD src0_sel:DWORD src1_sel:WORD_0
	v_add_nc_u32_e32 v5, 0xf00, v15
	v_add_nc_u32_e32 v7, 0xa00, v15
	v_lshlrev_b32_sdwa v29, v22, v8 dst_sel:DWORD dst_unused:UNUSED_PAD src0_sel:DWORD src1_sel:BYTE_0
	s_clause 0x3
	global_load_dword v30, v26, s[12:13]
	global_load_dword v31, v27, s[12:13]
	;; [unrolled: 1-line block ×4, first 2 shown]
	ds_read2_b32 v[5:6], v5 offset0:30 offset1:195
	ds_read2_b32 v[7:8], v7 offset0:20 offset1:185
	ds_read2_b32 v[9:10], v15 offset1:165
	ds_read2_b32 v[18:19], v35 offset0:74 offset1:239
	v_add3_u32 v26, 0, v38, v26
	v_add3_u32 v27, 0, v37, v27
	;; [unrolled: 1-line block ×4, first 2 shown]
	s_waitcnt vmcnt(0) lgkmcnt(0)
	s_barrier
	buffer_gl0_inv
	v_pk_mul_f16 v23, v30, v6 op_sel:[0,1]
	v_pk_mul_f16 v35, v31, v5 op_sel:[0,1]
	;; [unrolled: 1-line block ×4, first 2 shown]
	v_pk_fma_f16 v34, v30, v6, v23 op_sel:[0,0,1] op_sel_hi:[1,1,0] neg_lo:[0,0,1] neg_hi:[0,0,1]
	v_pk_fma_f16 v40, v31, v5, v35 op_sel:[0,0,1] op_sel_hi:[1,1,0] neg_lo:[0,0,1] neg_hi:[0,0,1]
	;; [unrolled: 1-line block ×4, first 2 shown]
	v_pk_fma_f16 v7, v33, v7, v38 op_sel:[0,0,1] op_sel_hi:[1,0,0]
	v_pk_fma_f16 v8, v32, v8, v37 op_sel:[0,0,1] op_sel_hi:[1,0,0]
	;; [unrolled: 1-line block ×4, first 2 shown]
	v_bfi_b32 v7, 0xffff, v42, v7
	v_bfi_b32 v8, 0xffff, v41, v8
	;; [unrolled: 1-line block ×4, first 2 shown]
	v_pk_add_f16 v7, v9, v7 neg_lo:[0,1] neg_hi:[0,1]
	v_pk_add_f16 v8, v10, v8 neg_lo:[0,1] neg_hi:[0,1]
	v_pk_add_f16 v5, v18, v5 neg_lo:[0,1] neg_hi:[0,1]
	v_pk_add_f16 v23, v19, v6 neg_lo:[0,1] neg_hi:[0,1]
	v_pk_fma_f16 v6, v9, 2.0, v7 op_sel_hi:[1,0,1] neg_lo:[0,0,1] neg_hi:[0,0,1]
	v_pk_fma_f16 v9, v10, 2.0, v8 op_sel_hi:[1,0,1] neg_lo:[0,0,1] neg_hi:[0,0,1]
	;; [unrolled: 1-line block ×4, first 2 shown]
	ds_write2_b32 v25, v6, v7 offset1:11
	ds_write2_b32 v28, v9, v8 offset1:11
	ds_write2_b32 v27, v10, v5 offset1:11
	ds_write2_b32 v26, v18, v23 offset1:11
	s_waitcnt lgkmcnt(0)
	s_barrier
	buffer_gl0_inv
	ds_read2_b32 v[5:6], v15 offset1:165
	ds_read2_b32 v[9:10], v36 offset0:56 offset1:221
	ds_read2_b32 v[7:8], v39 offset0:48 offset1:213
	v_lshrrev_b32_e32 v19, 16, v18
	v_lshrrev_b32_e32 v25, 16, v23
	s_and_saveexec_b32 s1, s0
	s_cbranch_execz .LBB0_15
; %bb.14:
	ds_read_b32 v18, v15 offset:1320
	ds_read_b32 v23, v15 offset:3080
	;; [unrolled: 1-line block ×3, first 2 shown]
	s_waitcnt lgkmcnt(2)
	v_lshrrev_b32_e32 v19, 16, v18
	s_waitcnt lgkmcnt(1)
	v_lshrrev_b32_e32 v25, 16, v23
	;; [unrolled: 2-line block ×3, first 2 shown]
.LBB0_15:
	s_or_b32 exec_lo, exec_lo, s1
	v_lshrrev_b16 v26, 1, v0
	v_lshrrev_b32_e32 v34, 20, v24
	v_lshrrev_b32_e32 v24, 20, v20
	v_mov_b32_e32 v29, 3
	v_mov_b32_e32 v40, 0x108
	v_and_b32_e32 v26, 0x7f, v26
	v_mul_lo_u16 v20, v34, 22
	s_waitcnt lgkmcnt(1)
	v_lshrrev_b32_e32 v37, 16, v9
	s_waitcnt lgkmcnt(0)
	v_lshrrev_b32_e32 v38, 16, v7
	v_mul_u32_u24_e32 v34, 0x108, v34
	v_mul_lo_u16 v26, 0xbb, v26
	v_sub_nc_u16 v36, v13, v20
	v_lshrrev_b32_e32 v39, 16, v10
	v_lshrrev_b32_e32 v41, 16, v8
	;; [unrolled: 1-line block ×3, first 2 shown]
	v_lshrrev_b16 v33, 11, v26
	v_lshlrev_b32_sdwa v30, v29, v36 dst_sel:DWORD dst_unused:UNUSED_PAD src0_sel:DWORD src1_sel:WORD_0
	v_lshlrev_b32_sdwa v36, v22, v36 dst_sel:DWORD dst_unused:UNUSED_PAD src0_sel:DWORD src1_sel:WORD_0
	v_mul_lo_u16 v26, v33, 22
	v_mul_u32_u24_sdwa v33, v33, v40 dst_sel:DWORD dst_unused:UNUSED_PAD src0_sel:WORD_0 src1_sel:DWORD
	v_add3_u32 v34, 0, v34, v36
	v_sub_nc_u16 v35, v0, v26
	v_mul_lo_u16 v26, v24, 22
	v_lshlrev_b32_sdwa v20, v29, v35 dst_sel:DWORD dst_unused:UNUSED_PAD src0_sel:DWORD src1_sel:BYTE_0
	v_sub_nc_u16 v26, v14, v26
	v_lshlrev_b32_sdwa v22, v22, v35 dst_sel:DWORD dst_unused:UNUSED_PAD src0_sel:DWORD src1_sel:BYTE_0
	global_load_dwordx2 v[27:28], v20, s[12:13] offset:44
	v_lshlrev_b32_sdwa v20, v29, v26 dst_sel:DWORD dst_unused:UNUSED_PAD src0_sel:DWORD src1_sel:WORD_0
	v_add3_u32 v22, 0, v33, v22
	s_clause 0x1
	global_load_dwordx2 v[29:30], v30, s[12:13] offset:44
	global_load_dwordx2 v[31:32], v20, s[12:13] offset:44
	v_lshrrev_b32_e32 v20, 16, v6
	s_waitcnt vmcnt(0)
	s_barrier
	buffer_gl0_inv
	v_mul_f16_sdwa v33, v27, v37 dst_sel:DWORD dst_unused:UNUSED_PAD src0_sel:WORD_1 src1_sel:DWORD
	v_mul_f16_sdwa v35, v27, v9 dst_sel:DWORD dst_unused:UNUSED_PAD src0_sel:WORD_1 src1_sel:DWORD
	;; [unrolled: 1-line block ×8, first 2 shown]
	v_mul_f16_sdwa v47, v25, v31 dst_sel:DWORD dst_unused:UNUSED_PAD src0_sel:DWORD src1_sel:WORD_1
	v_mul_f16_sdwa v48, v23, v31 dst_sel:DWORD dst_unused:UNUSED_PAD src0_sel:DWORD src1_sel:WORD_1
	;; [unrolled: 1-line block ×4, first 2 shown]
	v_fma_f16 v9, v27, v9, -v33
	v_fmac_f16_e32 v35, v27, v37
	v_fma_f16 v7, v28, v7, -v36
	v_fmac_f16_e32 v40, v28, v38
	;; [unrolled: 2-line block ×6, first 2 shown]
	v_add_f16_e32 v25, v9, v7
	v_add_f16_e32 v29, v35, v40
	v_sub_f16_e32 v27, v35, v40
	v_add_f16_e32 v28, v35, v42
	v_add_f16_e32 v31, v10, v8
	;; [unrolled: 1-line block ×4, first 2 shown]
	v_sub_f16_e32 v9, v9, v7
	v_add_f16_e32 v36, v18, v23
	v_add_f16_e32 v37, v23, v16
	;; [unrolled: 1-line block ×3, first 2 shown]
	v_fma_f16 v25, -0.5, v25, v5
	v_fmac_f16_e32 v42, -0.5, v29
	v_add_f16_e32 v30, v6, v10
	v_sub_f16_e32 v32, v44, v46
	v_add_f16_e32 v33, v20, v44
	v_sub_f16_e32 v10, v10, v8
	v_fmac_f16_e32 v6, -0.5, v31
	v_fmac_f16_e32 v20, -0.5, v35
	v_sub_f16_e32 v38, v48, v50
	v_add_f16_e32 v39, v19, v48
	v_sub_f16_e32 v23, v23, v16
	v_add_f16_e32 v17, v17, v7
	v_add_f16_e32 v28, v28, v40
	;; [unrolled: 1-line block ×3, first 2 shown]
	v_fmac_f16_e32 v18, -0.5, v37
	v_fmac_f16_e32 v19, -0.5, v41
	v_fmamk_f16 v16, v27, 0x3aee, v25
	v_fmac_f16_e32 v25, 0xbaee, v27
	v_fmamk_f16 v27, v9, 0xbaee, v42
	v_fmac_f16_e32 v42, 0x3aee, v9
	v_add_f16_e32 v29, v30, v8
	v_add_f16_e32 v30, v33, v46
	v_fmamk_f16 v31, v32, 0x3aee, v6
	v_fmac_f16_e32 v6, 0xbaee, v32
	v_fmamk_f16 v32, v10, 0xbaee, v20
	v_fmac_f16_e32 v20, 0x3aee, v10
	v_add_f16_e32 v8, v39, v50
	v_fmamk_f16 v7, v38, 0x3aee, v18
	v_fmac_f16_e32 v18, 0xbaee, v38
	v_fmamk_f16 v9, v23, 0xbaee, v19
	v_pack_b32_f16 v10, v17, v28
	v_pack_b32_f16 v16, v16, v27
	v_fmac_f16_e32 v19, 0x3aee, v23
	v_pack_b32_f16 v25, v25, v42
	v_pack_b32_f16 v17, v29, v30
	;; [unrolled: 1-line block ×4, first 2 shown]
	ds_write2_b32 v22, v10, v16 offset1:22
	ds_write_b32 v22, v25 offset:176
	ds_write2_b32 v34, v17, v27 offset1:22
	ds_write_b32 v34, v28 offset:176
	s_and_saveexec_b32 s1, s0
	s_cbranch_execz .LBB0_17
; %bb.16:
	v_mov_b32_e32 v10, 2
	v_mul_lo_u16 v16, 0x42, v24
	v_perm_b32 v22, v9, v7, 0x5040100
	v_lshlrev_b32_sdwa v17, v10, v26 dst_sel:DWORD dst_unused:UNUSED_PAD src0_sel:DWORD src1_sel:WORD_0
	v_lshlrev_b32_sdwa v10, v10, v16 dst_sel:DWORD dst_unused:UNUSED_PAD src0_sel:DWORD src1_sel:WORD_0
	v_perm_b32 v16, v8, v5, 0x5040100
	v_add3_u32 v10, 0, v17, v10
	v_perm_b32 v17, v19, v18, 0x5040100
	ds_write2_b32 v10, v16, v22 offset1:22
	ds_write_b32 v10, v17 offset:176
.LBB0_17:
	s_or_b32 exec_lo, exec_lo, s1
	s_waitcnt lgkmcnt(0)
	s_barrier
	buffer_gl0_inv
	ds_read_b32 v10, v15
	ds_read_b32 v24, v15 offset:1056
	ds_read_b32 v23, v15 offset:2112
	;; [unrolled: 1-line block ×4, first 2 shown]
	v_cmp_gt_u32_e64 s0, 0x63, v0
	s_and_saveexec_b32 s1, s0
	s_cbranch_execz .LBB0_19
; %bb.18:
	ds_read_b32 v6, v15 offset:660
	ds_read_b32 v11, v15 offset:4884
	;; [unrolled: 1-line block ×5, first 2 shown]
	s_waitcnt lgkmcnt(4)
	v_lshrrev_b32_e32 v20, 16, v6
	s_waitcnt lgkmcnt(3)
	v_lshrrev_b32_e32 v12, 16, v11
	;; [unrolled: 2-line block ×5, first 2 shown]
.LBB0_19:
	s_or_b32 exec_lo, exec_lo, s1
	v_mul_lo_u16 v16, 0xf9, v21
	v_mov_b32_e32 v31, 0x528
	s_waitcnt lgkmcnt(3)
	v_lshrrev_b32_e32 v33, 16, v24
	s_waitcnt lgkmcnt(1)
	v_lshrrev_b32_e32 v34, 16, v22
	;; [unrolled: 2-line block ×3, first 2 shown]
	v_lshrrev_b16 v29, 14, v16
	v_mov_b32_e32 v16, 4
	v_lshrrev_b32_e32 v32, 16, v10
	v_mul_lo_u16 v21, 0x42, v29
	v_mul_u32_u24_sdwa v29, v29, v31 dst_sel:DWORD dst_unused:UNUSED_PAD src0_sel:WORD_0 src1_sel:DWORD
	v_lshrrev_b32_e32 v31, 16, v23
	v_sub_nc_u16 v30, v0, v21
	v_lshlrev_b32_sdwa v21, v16, v30 dst_sel:DWORD dst_unused:UNUSED_PAD src0_sel:DWORD src1_sel:BYTE_0
	global_load_dwordx4 v[25:28], v21, s[12:13] offset:220
	v_mov_b32_e32 v21, 2
	s_waitcnt vmcnt(0)
	s_barrier
	buffer_gl0_inv
	v_lshlrev_b32_sdwa v30, v21, v30 dst_sel:DWORD dst_unused:UNUSED_PAD src0_sel:DWORD src1_sel:BYTE_0
	v_add3_u32 v29, 0, v29, v30
	v_mul_f16_sdwa v30, v25, v33 dst_sel:DWORD dst_unused:UNUSED_PAD src0_sel:WORD_1 src1_sel:DWORD
	v_mul_f16_sdwa v37, v26, v31 dst_sel:DWORD dst_unused:UNUSED_PAD src0_sel:WORD_1 src1_sel:DWORD
	;; [unrolled: 1-line block ×8, first 2 shown]
	v_fma_f16 v24, v25, v24, -v30
	v_fma_f16 v23, v26, v23, -v37
	v_fmac_f16_e32 v38, v26, v31
	v_fma_f16 v22, v27, v22, -v39
	v_fmac_f16_e32 v40, v27, v34
	;; [unrolled: 2-line block ×3, first 2 shown]
	v_fmac_f16_e32 v42, v28, v35
	v_add_f16_e32 v25, v10, v24
	v_add_f16_e32 v26, v23, v22
	;; [unrolled: 1-line block ×5, first 2 shown]
	v_sub_f16_e32 v27, v36, v42
	v_sub_f16_e32 v30, v24, v23
	;; [unrolled: 1-line block ×4, first 2 shown]
	v_add_f16_e32 v37, v32, v36
	v_sub_f16_e32 v24, v24, v17
	v_sub_f16_e32 v41, v23, v22
	v_add_f16_e32 v23, v25, v23
	v_fma_f16 v25, -0.5, v26, v10
	v_fmac_f16_e32 v10, -0.5, v33
	v_fma_f16 v33, -0.5, v39, v32
	v_sub_f16_e32 v28, v38, v40
	v_sub_f16_e32 v35, v22, v17
	;; [unrolled: 1-line block ×5, first 2 shown]
	v_fmac_f16_e32 v32, -0.5, v45
	v_sub_f16_e32 v44, v42, v40
	v_add_f16_e32 v26, v30, v31
	v_add_f16_e32 v31, v37, v38
	;; [unrolled: 1-line block ×3, first 2 shown]
	v_fmamk_f16 v23, v27, 0x3b9c, v25
	v_fmamk_f16 v37, v24, 0xbb9c, v33
	v_add_f16_e32 v30, v34, v35
	v_add_f16_e32 v35, v36, v46
	v_fmamk_f16 v36, v28, 0xbb9c, v10
	v_fmac_f16_e32 v10, 0x3b9c, v28
	v_fmamk_f16 v38, v41, 0x3b9c, v32
	v_fmac_f16_e32 v32, 0xbb9c, v41
	v_fmac_f16_e32 v25, 0xbb9c, v27
	;; [unrolled: 1-line block ×3, first 2 shown]
	v_add_f16_e32 v34, v43, v44
	v_add_f16_e32 v31, v31, v40
	v_fmac_f16_e32 v23, 0x38b4, v28
	v_fmac_f16_e32 v37, 0xb8b4, v41
	;; [unrolled: 1-line block ×8, first 2 shown]
	v_add_f16_e32 v17, v22, v17
	v_add_f16_e32 v22, v31, v42
	v_fmac_f16_e32 v23, 0x34f2, v26
	v_fmac_f16_e32 v37, 0x34f2, v34
	;; [unrolled: 1-line block ×8, first 2 shown]
	v_pack_b32_f16 v17, v17, v22
	v_pack_b32_f16 v22, v23, v37
	;; [unrolled: 1-line block ×5, first 2 shown]
	ds_write2_b32 v29, v17, v22 offset1:66
	ds_write2_b32 v29, v23, v10 offset0:132 offset1:198
	ds_write_b32 v29, v24 offset:1056
	s_and_saveexec_b32 s1, s0
	s_cbranch_execz .LBB0_21
; %bb.20:
	v_mov_b32_e32 v10, 0xf83f
	v_mul_u32_u24_sdwa v10, v13, v10 dst_sel:DWORD dst_unused:UNUSED_PAD src0_sel:WORD_0 src1_sel:DWORD
	v_lshrrev_b32_e32 v10, 22, v10
	v_mul_lo_u16 v17, 0x42, v10
	v_mul_lo_u16 v10, 0x14a, v10
	v_sub_nc_u16 v17, v13, v17
	v_lshlrev_b32_sdwa v10, v21, v10 dst_sel:DWORD dst_unused:UNUSED_PAD src0_sel:DWORD src1_sel:WORD_0
	v_lshlrev_b32_sdwa v16, v16, v17 dst_sel:DWORD dst_unused:UNUSED_PAD src0_sel:DWORD src1_sel:WORD_0
	global_load_dwordx4 v[22:25], v16, s[12:13] offset:220
	v_lshlrev_b32_sdwa v16, v21, v17 dst_sel:DWORD dst_unused:UNUSED_PAD src0_sel:DWORD src1_sel:WORD_0
	v_add3_u32 v10, 0, v16, v10
	s_waitcnt vmcnt(0)
	v_mul_f16_sdwa v16, v7, v23 dst_sel:DWORD dst_unused:UNUSED_PAD src0_sel:DWORD src1_sel:WORD_1
	v_mul_f16_sdwa v17, v5, v22 dst_sel:DWORD dst_unused:UNUSED_PAD src0_sel:DWORD src1_sel:WORD_1
	;; [unrolled: 1-line block ×8, first 2 shown]
	v_fmac_f16_e32 v16, v9, v23
	v_fmac_f16_e32 v17, v8, v22
	;; [unrolled: 1-line block ×4, first 2 shown]
	v_fma_f16 v7, v7, v23, -v27
	v_fma_f16 v8, v18, v24, -v28
	;; [unrolled: 1-line block ×4, first 2 shown]
	v_sub_f16_e32 v11, v16, v17
	v_sub_f16_e32 v12, v21, v26
	v_add_f16_e32 v19, v17, v26
	v_sub_f16_e32 v23, v7, v5
	v_sub_f16_e32 v24, v8, v9
	v_add_f16_e32 v27, v5, v9
	v_add_f16_e32 v31, v16, v21
	;; [unrolled: 1-line block ×3, first 2 shown]
	v_sub_f16_e32 v22, v5, v9
	v_sub_f16_e32 v25, v17, v26
	;; [unrolled: 1-line block ×5, first 2 shown]
	v_add_f16_e32 v17, v20, v17
	v_add_f16_e32 v5, v6, v5
	;; [unrolled: 1-line block ×3, first 2 shown]
	v_fma_f16 v12, -0.5, v19, v20
	v_add_f16_e32 v19, v23, v24
	v_fma_f16 v23, -0.5, v27, v6
	v_fma_f16 v20, -0.5, v31, v20
	;; [unrolled: 1-line block ×3, first 2 shown]
	v_sub_f16_e32 v18, v7, v8
	v_sub_f16_e32 v28, v16, v21
	;; [unrolled: 1-line block ×3, first 2 shown]
	v_add_f16_e32 v24, v29, v30
	v_add_f16_e32 v16, v17, v16
	;; [unrolled: 1-line block ×3, first 2 shown]
	v_fmamk_f16 v29, v22, 0xbb9c, v20
	v_fmamk_f16 v30, v25, 0x3b9c, v6
	;; [unrolled: 1-line block ×4, first 2 shown]
	v_fmac_f16_e32 v12, 0xbb9c, v18
	v_fmac_f16_e32 v23, 0x3b9c, v28
	;; [unrolled: 1-line block ×4, first 2 shown]
	v_add_f16_e32 v27, v32, v33
	v_add_f16_e32 v16, v16, v21
	;; [unrolled: 1-line block ×3, first 2 shown]
	v_fmac_f16_e32 v29, 0xb8b4, v18
	v_fmac_f16_e32 v30, 0x38b4, v28
	;; [unrolled: 1-line block ×8, first 2 shown]
	v_add_f16_e32 v8, v16, v26
	v_add_f16_e32 v5, v5, v9
	v_fmac_f16_e32 v29, 0x34f2, v24
	v_fmac_f16_e32 v30, 0x34f2, v27
	v_fmac_f16_e32 v7, 0x34f2, v11
	v_fmac_f16_e32 v17, 0x34f2, v19
	v_fmac_f16_e32 v12, 0x34f2, v11
	v_fmac_f16_e32 v23, 0x34f2, v19
	v_fmac_f16_e32 v20, 0x34f2, v24
	v_fmac_f16_e32 v6, 0x34f2, v27
	v_pack_b32_f16 v5, v5, v8
	v_pack_b32_f16 v8, v30, v29
	;; [unrolled: 1-line block ×5, first 2 shown]
	ds_write2_b32 v10, v5, v8 offset1:66
	ds_write2_b32 v10, v7, v9 offset0:132 offset1:198
	ds_write_b32 v10, v6 offset:1056
.LBB0_21:
	s_or_b32 exec_lo, exec_lo, s1
	s_waitcnt lgkmcnt(0)
	s_barrier
	buffer_gl0_inv
	s_and_saveexec_b32 s0, vcc_lo
	s_cbranch_execz .LBB0_23
; %bb.22:
	v_mul_u32_u24_e32 v5, 3, v13
	v_mul_u32_u24_e32 v8, 3, v0
	v_add_nc_u32_e32 v19, 0xa00, v15
	v_add_nc_u32_e32 v21, 0x400, v15
	;; [unrolled: 1-line block ×3, first 2 shown]
	v_lshlrev_b32_e32 v5, 2, v5
	v_lshlrev_b32_e32 v8, 2, v8
	ds_read2_b32 v[11:12], v15 offset1:165
	v_add_nc_u32_e32 v32, 0x294, v0
	v_mul_lo_u32 v29, s5, v3
	s_clause 0x1
	global_load_dwordx3 v[5:7], v5, s[12:13] offset:1276
	global_load_dwordx3 v[8:10], v8, s[12:13] offset:1276
	ds_read2_b32 v[19:20], v19 offset0:20 offset1:185
	ds_read2_b32 v[21:22], v21 offset0:74 offset1:239
	;; [unrolled: 1-line block ×3, first 2 shown]
	v_mul_lo_u32 v30, s4, v4
	v_mad_u64_u32 v[3:4], null, s4, v3, 0
	v_add_nc_u32_e32 v33, 0x3de, v0
	v_mul_hi_u32 v31, 0x634c0635, v13
	v_mad_u64_u32 v[15:16], null, s2, v0, 0
	v_mad_u64_u32 v[17:18], null, s2, v14, 0
	;; [unrolled: 1-line block ×4, first 2 shown]
	v_add3_u32 v4, v4, v30, v29
	v_lshrrev_b32_e32 v34, 7, v31
	v_lshlrev_b64 v[1:2], 2, v[1:2]
	v_mad_u64_u32 v[29:30], null, s3, v0, v[16:17]
	v_mov_b32_e32 v0, v26
	v_lshlrev_b64 v[3:4], 2, v[3:4]
	s_waitcnt lgkmcnt(2)
	v_mad_u64_u32 v[30:31], null, s3, v14, v[18:19]
	v_mov_b32_e32 v14, v28
	v_mad_u32_u24 v36, 0x3de, v34, v13
	v_mad_u64_u32 v[31:32], null, s3, v32, v[0:1]
	v_add_co_u32 v0, vcc_lo, s10, v3
	v_mad_u64_u32 v[13:14], null, s3, v33, v[14:15]
	v_mad_u64_u32 v[32:33], null, s2, v36, 0
	v_add_nc_u32_e32 v37, 0x14a, v36
	v_add_co_ci_u32_e32 v14, vcc_lo, s11, v4, vcc_lo
	v_add_co_u32 v42, vcc_lo, v0, v1
	v_mad_u64_u32 v[3:4], null, s2, v37, 0
	v_add_nc_u32_e32 v38, 0x294, v36
	v_mov_b32_e32 v16, v29
	v_add_co_ci_u32_e32 v43, vcc_lo, v14, v2, vcc_lo
	v_mov_b32_e32 v26, v31
	v_mov_b32_e32 v2, v33
	v_add_nc_u32_e32 v39, 0x3de, v36
	v_mov_b32_e32 v18, v30
	v_mad_u64_u32 v[29:30], null, s2, v38, 0
	v_mov_b32_e32 v28, v13
	v_lshlrev_b64 v[0:1], 2, v[15:16]
	v_lshlrev_b64 v[15:16], 2, v[25:26]
	v_mad_u64_u32 v[25:26], null, s3, v36, v[2:3]
	v_mov_b32_e32 v2, v4
	v_mad_u64_u32 v[34:35], null, s2, v39, 0
	v_lshlrev_b64 v[13:14], 2, v[17:18]
	v_lshlrev_b64 v[17:18], 2, v[27:28]
	v_mad_u64_u32 v[27:28], null, s3, v37, v[2:3]
	v_mov_b32_e32 v4, v30
	v_add_co_u32 v0, vcc_lo, v42, v0
	v_mov_b32_e32 v26, v35
	v_mov_b32_e32 v33, v25
	v_add_co_ci_u32_e32 v1, vcc_lo, v43, v1, vcc_lo
	v_add_co_u32 v13, vcc_lo, v42, v13
	v_add_co_ci_u32_e32 v14, vcc_lo, v43, v14, vcc_lo
	v_mad_u64_u32 v[35:36], null, s3, v39, v[26:27]
	v_add_co_u32 v15, vcc_lo, v42, v15
	v_lshlrev_b64 v[25:26], 2, v[32:33]
	v_add_co_ci_u32_e32 v16, vcc_lo, v43, v16, vcc_lo
	v_add_co_u32 v17, vcc_lo, v42, v17
	v_add_co_ci_u32_e32 v18, vcc_lo, v43, v18, vcc_lo
	v_add_co_u32 v25, vcc_lo, v42, v25
	v_add_co_ci_u32_e32 v26, vcc_lo, v43, v26, vcc_lo
	v_lshrrev_b32_e32 v40, 16, v12
	v_lshrrev_b32_e32 v41, 16, v11
	s_waitcnt vmcnt(1)
	v_mad_u64_u32 v[30:31], null, s3, v38, v[4:5]
	v_mov_b32_e32 v4, v27
	v_lshrrev_b32_e32 v31, 16, v6
	v_lshrrev_b32_e32 v32, 16, v7
	s_waitcnt lgkmcnt(1)
	v_mul_f16_sdwa v33, v5, v22 dst_sel:DWORD dst_unused:UNUSED_PAD src0_sel:DWORD src1_sel:WORD_1
	s_waitcnt vmcnt(0)
	v_lshrrev_b32_e32 v36, 16, v8
	v_lshlrev_b64 v[2:3], 2, v[3:4]
	v_lshlrev_b64 v[27:28], 2, v[29:30]
	;; [unrolled: 1-line block ×3, first 2 shown]
	v_lshrrev_b32_e32 v4, 16, v5
	s_waitcnt lgkmcnt(0)
	v_mul_f16_sdwa v34, v7, v24 dst_sel:DWORD dst_unused:UNUSED_PAD src0_sel:DWORD src1_sel:WORD_1
	v_mul_f16_sdwa v35, v6, v20 dst_sel:DWORD dst_unused:UNUSED_PAD src0_sel:DWORD src1_sel:WORD_1
	v_add_co_u32 v2, vcc_lo, v42, v2
	v_add_co_ci_u32_e32 v3, vcc_lo, v43, v3, vcc_lo
	v_add_co_u32 v27, vcc_lo, v42, v27
	v_add_co_ci_u32_e32 v28, vcc_lo, v43, v28, vcc_lo
	;; [unrolled: 2-line block ×3, first 2 shown]
	v_lshrrev_b32_e32 v37, 16, v9
	v_lshrrev_b32_e32 v38, 16, v10
	v_mul_f16_sdwa v39, v8, v21 dst_sel:DWORD dst_unused:UNUSED_PAD src0_sel:DWORD src1_sel:WORD_1
	v_mul_f16_sdwa v43, v9, v19 dst_sel:DWORD dst_unused:UNUSED_PAD src0_sel:DWORD src1_sel:WORD_1
	;; [unrolled: 1-line block ×4, first 2 shown]
	v_fmac_f16_e32 v33, v4, v22
	v_fmac_f16_e32 v34, v32, v24
	;; [unrolled: 1-line block ×3, first 2 shown]
	v_mul_f16_sdwa v4, v4, v22 dst_sel:DWORD dst_unused:UNUSED_PAD src0_sel:DWORD src1_sel:WORD_1
	v_mul_f16_sdwa v31, v32, v24 dst_sel:DWORD dst_unused:UNUSED_PAD src0_sel:DWORD src1_sel:WORD_1
	;; [unrolled: 1-line block ×3, first 2 shown]
	v_fmac_f16_e32 v39, v36, v21
	v_fmac_f16_e32 v43, v37, v19
	v_mul_f16_sdwa v36, v36, v21 dst_sel:DWORD dst_unused:UNUSED_PAD src0_sel:DWORD src1_sel:WORD_1
	v_mul_f16_sdwa v37, v38, v23 dst_sel:DWORD dst_unused:UNUSED_PAD src0_sel:DWORD src1_sel:WORD_1
	v_fmac_f16_e32 v42, v38, v23
	v_fma_f16 v4, v5, v22, -v4
	v_fma_f16 v5, v7, v24, -v31
	;; [unrolled: 1-line block ×6, first 2 shown]
	v_sub_f16_e32 v20, v33, v34
	v_sub_f16_e32 v34, v40, v35
	;; [unrolled: 1-line block ×8, first 2 shown]
	v_fma_f16 v21, v40, 2.0, -v34
	v_fma_f16 v22, v33, 2.0, -v20
	;; [unrolled: 1-line block ×8, first 2 shown]
	v_add_f16_e32 v31, v34, v5
	v_sub_f16_e32 v5, v21, v22
	v_add_f16_e32 v22, v19, v10
	v_sub_f16_e32 v10, v23, v24
	v_sub_f16_e32 v8, v11, v8
	;; [unrolled: 1-line block ×5, first 2 shown]
	v_fma_f16 v23, v23, 2.0, -v10
	v_fma_f16 v11, v11, 2.0, -v8
	;; [unrolled: 1-line block ×8, first 2 shown]
	v_pack_b32_f16 v11, v11, v23
	v_pack_b32_f16 v7, v7, v19
	;; [unrolled: 1-line block ×8, first 2 shown]
	global_store_dword v[0:1], v11, off
	global_store_dword v[13:14], v7, off
	global_store_dword v[15:16], v8, off
	global_store_dword v[17:18], v9, off
	global_store_dword v[25:26], v5, off
	global_store_dword v[2:3], v6, off
	global_store_dword v[27:28], v4, off
	global_store_dword v[29:30], v20, off
.LBB0_23:
	s_endpgm
	.section	.rodata,"a",@progbits
	.p2align	6, 0x0
	.amdhsa_kernel fft_rtc_fwd_len1320_factors_11_2_3_5_4_wgs_165_tpt_165_half_op_CI_CI_sbrr_dirReg
		.amdhsa_group_segment_fixed_size 0
		.amdhsa_private_segment_fixed_size 0
		.amdhsa_kernarg_size 104
		.amdhsa_user_sgpr_count 6
		.amdhsa_user_sgpr_private_segment_buffer 1
		.amdhsa_user_sgpr_dispatch_ptr 0
		.amdhsa_user_sgpr_queue_ptr 0
		.amdhsa_user_sgpr_kernarg_segment_ptr 1
		.amdhsa_user_sgpr_dispatch_id 0
		.amdhsa_user_sgpr_flat_scratch_init 0
		.amdhsa_user_sgpr_private_segment_size 0
		.amdhsa_wavefront_size32 1
		.amdhsa_uses_dynamic_stack 0
		.amdhsa_system_sgpr_private_segment_wavefront_offset 0
		.amdhsa_system_sgpr_workgroup_id_x 1
		.amdhsa_system_sgpr_workgroup_id_y 0
		.amdhsa_system_sgpr_workgroup_id_z 0
		.amdhsa_system_sgpr_workgroup_info 0
		.amdhsa_system_vgpr_workitem_id 0
		.amdhsa_next_free_vgpr 96
		.amdhsa_next_free_sgpr 31
		.amdhsa_reserve_vcc 1
		.amdhsa_reserve_flat_scratch 0
		.amdhsa_float_round_mode_32 0
		.amdhsa_float_round_mode_16_64 0
		.amdhsa_float_denorm_mode_32 3
		.amdhsa_float_denorm_mode_16_64 3
		.amdhsa_dx10_clamp 1
		.amdhsa_ieee_mode 1
		.amdhsa_fp16_overflow 0
		.amdhsa_workgroup_processor_mode 1
		.amdhsa_memory_ordered 1
		.amdhsa_forward_progress 0
		.amdhsa_shared_vgpr_count 0
		.amdhsa_exception_fp_ieee_invalid_op 0
		.amdhsa_exception_fp_denorm_src 0
		.amdhsa_exception_fp_ieee_div_zero 0
		.amdhsa_exception_fp_ieee_overflow 0
		.amdhsa_exception_fp_ieee_underflow 0
		.amdhsa_exception_fp_ieee_inexact 0
		.amdhsa_exception_int_div_zero 0
	.end_amdhsa_kernel
	.text
.Lfunc_end0:
	.size	fft_rtc_fwd_len1320_factors_11_2_3_5_4_wgs_165_tpt_165_half_op_CI_CI_sbrr_dirReg, .Lfunc_end0-fft_rtc_fwd_len1320_factors_11_2_3_5_4_wgs_165_tpt_165_half_op_CI_CI_sbrr_dirReg
                                        ; -- End function
	.section	.AMDGPU.csdata,"",@progbits
; Kernel info:
; codeLenInByte = 8456
; NumSgprs: 33
; NumVgprs: 96
; ScratchSize: 0
; MemoryBound: 0
; FloatMode: 240
; IeeeMode: 1
; LDSByteSize: 0 bytes/workgroup (compile time only)
; SGPRBlocks: 4
; VGPRBlocks: 11
; NumSGPRsForWavesPerEU: 33
; NumVGPRsForWavesPerEU: 96
; Occupancy: 10
; WaveLimiterHint : 1
; COMPUTE_PGM_RSRC2:SCRATCH_EN: 0
; COMPUTE_PGM_RSRC2:USER_SGPR: 6
; COMPUTE_PGM_RSRC2:TRAP_HANDLER: 0
; COMPUTE_PGM_RSRC2:TGID_X_EN: 1
; COMPUTE_PGM_RSRC2:TGID_Y_EN: 0
; COMPUTE_PGM_RSRC2:TGID_Z_EN: 0
; COMPUTE_PGM_RSRC2:TIDIG_COMP_CNT: 0
	.text
	.p2alignl 6, 3214868480
	.fill 48, 4, 3214868480
	.type	__hip_cuid_440dcdad17ae629e,@object ; @__hip_cuid_440dcdad17ae629e
	.section	.bss,"aw",@nobits
	.globl	__hip_cuid_440dcdad17ae629e
__hip_cuid_440dcdad17ae629e:
	.byte	0                               ; 0x0
	.size	__hip_cuid_440dcdad17ae629e, 1

	.ident	"AMD clang version 19.0.0git (https://github.com/RadeonOpenCompute/llvm-project roc-6.4.0 25133 c7fe45cf4b819c5991fe208aaa96edf142730f1d)"
	.section	".note.GNU-stack","",@progbits
	.addrsig
	.addrsig_sym __hip_cuid_440dcdad17ae629e
	.amdgpu_metadata
---
amdhsa.kernels:
  - .args:
      - .actual_access:  read_only
        .address_space:  global
        .offset:         0
        .size:           8
        .value_kind:     global_buffer
      - .offset:         8
        .size:           8
        .value_kind:     by_value
      - .actual_access:  read_only
        .address_space:  global
        .offset:         16
        .size:           8
        .value_kind:     global_buffer
      - .actual_access:  read_only
        .address_space:  global
        .offset:         24
        .size:           8
        .value_kind:     global_buffer
      - .actual_access:  read_only
        .address_space:  global
        .offset:         32
        .size:           8
        .value_kind:     global_buffer
      - .offset:         40
        .size:           8
        .value_kind:     by_value
      - .actual_access:  read_only
        .address_space:  global
        .offset:         48
        .size:           8
        .value_kind:     global_buffer
      - .actual_access:  read_only
        .address_space:  global
        .offset:         56
        .size:           8
        .value_kind:     global_buffer
      - .offset:         64
        .size:           4
        .value_kind:     by_value
      - .actual_access:  read_only
        .address_space:  global
        .offset:         72
        .size:           8
        .value_kind:     global_buffer
      - .actual_access:  read_only
        .address_space:  global
        .offset:         80
        .size:           8
        .value_kind:     global_buffer
      - .actual_access:  read_only
        .address_space:  global
        .offset:         88
        .size:           8
        .value_kind:     global_buffer
      - .actual_access:  write_only
        .address_space:  global
        .offset:         96
        .size:           8
        .value_kind:     global_buffer
    .group_segment_fixed_size: 0
    .kernarg_segment_align: 8
    .kernarg_segment_size: 104
    .language:       OpenCL C
    .language_version:
      - 2
      - 0
    .max_flat_workgroup_size: 165
    .name:           fft_rtc_fwd_len1320_factors_11_2_3_5_4_wgs_165_tpt_165_half_op_CI_CI_sbrr_dirReg
    .private_segment_fixed_size: 0
    .sgpr_count:     33
    .sgpr_spill_count: 0
    .symbol:         fft_rtc_fwd_len1320_factors_11_2_3_5_4_wgs_165_tpt_165_half_op_CI_CI_sbrr_dirReg.kd
    .uniform_work_group_size: 1
    .uses_dynamic_stack: false
    .vgpr_count:     96
    .vgpr_spill_count: 0
    .wavefront_size: 32
    .workgroup_processor_mode: 1
amdhsa.target:   amdgcn-amd-amdhsa--gfx1030
amdhsa.version:
  - 1
  - 2
...

	.end_amdgpu_metadata
